;; amdgpu-corpus repo=ROCm/rocFFT kind=compiled arch=gfx950 opt=O3
	.text
	.amdgcn_target "amdgcn-amd-amdhsa--gfx950"
	.amdhsa_code_object_version 6
	.protected	fft_rtc_fwd_len400_factors_4_10_10_wgs_120_tpt_40_halfLds_sp_ip_CI_unitstride_sbrr_dirReg ; -- Begin function fft_rtc_fwd_len400_factors_4_10_10_wgs_120_tpt_40_halfLds_sp_ip_CI_unitstride_sbrr_dirReg
	.globl	fft_rtc_fwd_len400_factors_4_10_10_wgs_120_tpt_40_halfLds_sp_ip_CI_unitstride_sbrr_dirReg
	.p2align	8
	.type	fft_rtc_fwd_len400_factors_4_10_10_wgs_120_tpt_40_halfLds_sp_ip_CI_unitstride_sbrr_dirReg,@function
fft_rtc_fwd_len400_factors_4_10_10_wgs_120_tpt_40_halfLds_sp_ip_CI_unitstride_sbrr_dirReg: ; @fft_rtc_fwd_len400_factors_4_10_10_wgs_120_tpt_40_halfLds_sp_ip_CI_unitstride_sbrr_dirReg
; %bb.0:
	s_load_dwordx2 s[8:9], s[0:1], 0x50
	s_load_dwordx4 s[4:7], s[0:1], 0x0
	s_load_dwordx2 s[10:11], s[0:1], 0x18
	v_mul_u32_u24_e32 v1, 0x667, v0
	v_lshrrev_b32_e32 v2, 16, v1
	v_mad_u64_u32 v[6:7], s[2:3], s2, 3, v[2:3]
	v_mov_b32_e32 v4, 0
	v_mov_b32_e32 v7, v4
	s_waitcnt lgkmcnt(0)
	v_cmp_lt_u64_e64 s[2:3], s[6:7], 2
	s_and_b64 vcc, exec, s[2:3]
	v_mov_b64_e32 v[2:3], 0
	v_mov_b64_e32 v[10:11], v[6:7]
	s_cbranch_vccnz .LBB0_8
; %bb.1:
	s_load_dwordx2 s[2:3], s[0:1], 0x10
	s_add_u32 s12, s10, 8
	s_addc_u32 s13, s11, 0
	s_mov_b64 s[14:15], 1
	v_mov_b64_e32 v[2:3], 0
	s_waitcnt lgkmcnt(0)
	s_add_u32 s16, s2, 8
	s_addc_u32 s17, s3, 0
	v_mov_b64_e32 v[8:9], v[6:7]
.LBB0_2:                                ; =>This Inner Loop Header: Depth=1
	s_load_dwordx2 s[18:19], s[16:17], 0x0
                                        ; implicit-def: $vgpr10_vgpr11
	s_waitcnt lgkmcnt(0)
	v_or_b32_e32 v5, s19, v9
	v_cmp_ne_u64_e32 vcc, 0, v[4:5]
	s_and_saveexec_b64 s[2:3], vcc
	s_xor_b64 s[20:21], exec, s[2:3]
	s_cbranch_execz .LBB0_4
; %bb.3:                                ;   in Loop: Header=BB0_2 Depth=1
	v_cvt_f32_u32_e32 v1, s18
	v_cvt_f32_u32_e32 v5, s19
	s_sub_u32 s2, 0, s18
	s_subb_u32 s3, 0, s19
	v_fmac_f32_e32 v1, 0x4f800000, v5
	v_rcp_f32_e32 v1, v1
	s_nop 0
	v_mul_f32_e32 v1, 0x5f7ffffc, v1
	v_mul_f32_e32 v5, 0x2f800000, v1
	v_trunc_f32_e32 v5, v5
	v_fmac_f32_e32 v1, 0xcf800000, v5
	v_cvt_u32_f32_e32 v5, v5
	v_cvt_u32_f32_e32 v1, v1
	v_mul_lo_u32 v7, s2, v5
	v_mul_hi_u32 v10, s2, v1
	v_mul_lo_u32 v11, s3, v1
	v_add_u32_e32 v7, v10, v7
	v_mul_lo_u32 v14, s2, v1
	v_add_u32_e32 v7, v7, v11
	v_mul_hi_u32 v10, v1, v14
	v_mul_hi_u32 v13, v1, v7
	v_mul_lo_u32 v12, v1, v7
	v_mov_b32_e32 v11, v4
	v_lshl_add_u64 v[10:11], v[10:11], 0, v[12:13]
	v_mul_hi_u32 v13, v5, v14
	v_mul_lo_u32 v14, v5, v14
	v_add_co_u32_e32 v10, vcc, v10, v14
	v_mul_hi_u32 v12, v5, v7
	s_nop 0
	v_addc_co_u32_e32 v10, vcc, v11, v13, vcc
	v_mov_b32_e32 v11, v4
	s_nop 0
	v_addc_co_u32_e32 v13, vcc, 0, v12, vcc
	v_mul_lo_u32 v12, v5, v7
	v_lshl_add_u64 v[10:11], v[10:11], 0, v[12:13]
	v_add_co_u32_e32 v1, vcc, v1, v10
	v_mul_hi_u32 v10, s2, v1
	s_nop 0
	v_addc_co_u32_e32 v5, vcc, v5, v11, vcc
	v_mul_lo_u32 v7, s2, v5
	v_add_u32_e32 v7, v10, v7
	v_mul_lo_u32 v10, s3, v1
	v_add_u32_e32 v7, v7, v10
	v_mul_lo_u32 v12, s2, v1
	v_mul_hi_u32 v15, v5, v12
	v_mul_lo_u32 v16, v5, v12
	v_mul_hi_u32 v11, v1, v7
	;; [unrolled: 2-line block ×3, first 2 shown]
	v_mov_b32_e32 v13, v4
	v_lshl_add_u64 v[10:11], v[12:13], 0, v[10:11]
	v_add_co_u32_e32 v10, vcc, v10, v16
	v_mul_hi_u32 v14, v5, v7
	s_nop 0
	v_addc_co_u32_e32 v10, vcc, v11, v15, vcc
	v_mul_lo_u32 v12, v5, v7
	s_nop 0
	v_addc_co_u32_e32 v13, vcc, 0, v14, vcc
	v_mov_b32_e32 v11, v4
	v_lshl_add_u64 v[10:11], v[10:11], 0, v[12:13]
	v_add_co_u32_e32 v1, vcc, v1, v10
	v_mul_hi_u32 v12, v8, v1
	s_nop 0
	v_addc_co_u32_e32 v5, vcc, v5, v11, vcc
	v_mad_u64_u32 v[10:11], s[2:3], v8, v5, 0
	v_mov_b32_e32 v13, v4
	v_lshl_add_u64 v[10:11], v[12:13], 0, v[10:11]
	v_mad_u64_u32 v[14:15], s[2:3], v9, v1, 0
	v_add_co_u32_e32 v1, vcc, v10, v14
	v_mad_u64_u32 v[12:13], s[2:3], v9, v5, 0
	s_nop 0
	v_addc_co_u32_e32 v10, vcc, v11, v15, vcc
	v_mov_b32_e32 v11, v4
	s_nop 0
	v_addc_co_u32_e32 v13, vcc, 0, v13, vcc
	v_lshl_add_u64 v[10:11], v[10:11], 0, v[12:13]
	v_mul_lo_u32 v1, s19, v10
	v_mul_lo_u32 v5, s18, v11
	v_mad_u64_u32 v[12:13], s[2:3], s18, v10, 0
	v_add3_u32 v1, v13, v5, v1
	v_sub_u32_e32 v5, v9, v1
	v_mov_b32_e32 v7, s19
	v_sub_co_u32_e32 v16, vcc, v8, v12
	v_lshl_add_u64 v[14:15], v[10:11], 0, 1
	s_nop 0
	v_subb_co_u32_e64 v5, s[2:3], v5, v7, vcc
	v_subrev_co_u32_e64 v7, s[2:3], s18, v16
	v_subb_co_u32_e32 v1, vcc, v9, v1, vcc
	s_nop 0
	v_subbrev_co_u32_e64 v5, s[2:3], 0, v5, s[2:3]
	v_cmp_le_u32_e64 s[2:3], s19, v5
	v_cmp_le_u32_e32 vcc, s19, v1
	s_nop 0
	v_cndmask_b32_e64 v12, 0, -1, s[2:3]
	v_cmp_le_u32_e64 s[2:3], s18, v7
	s_nop 1
	v_cndmask_b32_e64 v7, 0, -1, s[2:3]
	v_cmp_eq_u32_e64 s[2:3], s19, v5
	s_nop 1
	v_cndmask_b32_e64 v5, v12, v7, s[2:3]
	v_lshl_add_u64 v[12:13], v[10:11], 0, 2
	v_cmp_ne_u32_e64 s[2:3], 0, v5
	v_cndmask_b32_e64 v7, 0, -1, vcc
	v_cmp_le_u32_e32 vcc, s18, v16
	v_cndmask_b32_e64 v5, v15, v13, s[2:3]
	s_nop 0
	v_cndmask_b32_e64 v13, 0, -1, vcc
	v_cmp_eq_u32_e32 vcc, s19, v1
	s_nop 1
	v_cndmask_b32_e32 v1, v7, v13, vcc
	v_cmp_ne_u32_e32 vcc, 0, v1
	v_cndmask_b32_e64 v1, v14, v12, s[2:3]
	s_nop 0
	v_cndmask_b32_e32 v11, v11, v5, vcc
	v_cndmask_b32_e32 v10, v10, v1, vcc
.LBB0_4:                                ;   in Loop: Header=BB0_2 Depth=1
	s_andn2_saveexec_b64 s[2:3], s[20:21]
	s_cbranch_execz .LBB0_6
; %bb.5:                                ;   in Loop: Header=BB0_2 Depth=1
	v_cvt_f32_u32_e32 v1, s18
	s_sub_i32 s20, 0, s18
	v_mov_b32_e32 v11, v4
	v_rcp_iflag_f32_e32 v1, v1
	s_nop 0
	v_mul_f32_e32 v1, 0x4f7ffffe, v1
	v_cvt_u32_f32_e32 v1, v1
	v_mul_lo_u32 v5, s20, v1
	v_mul_hi_u32 v5, v1, v5
	v_add_u32_e32 v1, v1, v5
	v_mul_hi_u32 v1, v8, v1
	v_mul_lo_u32 v5, v1, s18
	v_sub_u32_e32 v5, v8, v5
	v_add_u32_e32 v7, 1, v1
	v_subrev_u32_e32 v10, s18, v5
	v_cmp_le_u32_e32 vcc, s18, v5
	s_nop 1
	v_cndmask_b32_e32 v5, v5, v10, vcc
	v_cndmask_b32_e32 v1, v1, v7, vcc
	v_add_u32_e32 v7, 1, v1
	v_cmp_le_u32_e32 vcc, s18, v5
	s_nop 1
	v_cndmask_b32_e32 v10, v1, v7, vcc
.LBB0_6:                                ;   in Loop: Header=BB0_2 Depth=1
	s_or_b64 exec, exec, s[2:3]
	v_mad_u64_u32 v[12:13], s[2:3], v10, s18, 0
	s_load_dwordx2 s[2:3], s[12:13], 0x0
	s_add_u32 s14, s14, 1
	v_mul_lo_u32 v1, v11, s18
	v_mul_lo_u32 v5, v10, s19
	s_addc_u32 s15, s15, 0
	v_add3_u32 v1, v13, v5, v1
	v_sub_co_u32_e32 v5, vcc, v8, v12
	s_add_u32 s12, s12, 8
	s_nop 0
	v_subb_co_u32_e32 v1, vcc, v9, v1, vcc
	s_addc_u32 s13, s13, 0
	v_mov_b64_e32 v[8:9], s[6:7]
	s_waitcnt lgkmcnt(0)
	v_mul_lo_u32 v1, s2, v1
	v_mul_lo_u32 v7, s3, v5
	v_mad_u64_u32 v[2:3], s[2:3], s2, v5, v[2:3]
	s_add_u32 s16, s16, 8
	v_cmp_ge_u64_e32 vcc, s[14:15], v[8:9]
	v_add3_u32 v3, v7, v3, v1
	s_addc_u32 s17, s17, 0
	s_cbranch_vccnz .LBB0_8
; %bb.7:                                ;   in Loop: Header=BB0_2 Depth=1
	v_mov_b64_e32 v[8:9], v[10:11]
	s_branch .LBB0_2
.LBB0_8:
	s_lshl_b64 s[2:3], s[6:7], 3
	s_add_u32 s2, s10, s2
	s_addc_u32 s3, s11, s3
	s_load_dwordx2 s[6:7], s[2:3], 0x0
	s_load_dwordx2 s[10:11], s[0:1], 0x20
	v_mov_b32_e32 v8, 0
	v_mov_b32_e32 v9, v8
                                        ; implicit-def: $vgpr7
                                        ; implicit-def: $vgpr33
                                        ; implicit-def: $vgpr19
                                        ; implicit-def: $vgpr30
                                        ; implicit-def: $vgpr28
                                        ; implicit-def: $vgpr20
                                        ; implicit-def: $vgpr24
                                        ; implicit-def: $vgpr37
                                        ; implicit-def: $vgpr23
                                        ; implicit-def: $vgpr16
                                        ; implicit-def: $vgpr26
                                        ; implicit-def: $vgpr35
                                        ; implicit-def: $vgpr15
	s_waitcnt lgkmcnt(0)
	v_mad_u64_u32 v[12:13], s[0:1], s6, v10, v[2:3]
	v_mul_lo_u32 v1, s6, v11
	v_mul_lo_u32 v4, s7, v10
	s_mov_b32 s0, 0x6666667
	v_add3_u32 v13, v4, v13, v1
	v_mul_hi_u32 v1, v0, s0
	v_mul_u32_u24_e32 v1, 40, v1
	v_cmp_gt_u64_e32 vcc, s[10:11], v[10:11]
	v_sub_u32_e32 v4, v0, v1
	v_mov_b32_e32 v2, 0
	v_lshl_add_u64 v[0:1], v[12:13], 3, s[8:9]
	v_mov_b32_e32 v10, v8
	v_mov_b32_e32 v11, v8
                                        ; implicit-def: $vgpr13
	s_and_saveexec_b64 s[2:3], vcc
	s_cbranch_execz .LBB0_12
; %bb.9:
	v_mov_b32_e32 v5, 0
	v_lshl_add_u64 v[2:3], v[4:5], 3, v[0:1]
	global_load_dwordx2 v[20:21], v[2:3], off
	global_load_dwordx2 v[26:27], v[2:3], off offset:1600
	global_load_dwordx2 v[14:15], v[2:3], off offset:1120
	;; [unrolled: 1-line block ×7, first 2 shown]
	v_cmp_gt_u32_e64 s[0:1], 20, v4
	v_mov_b32_e32 v10, v5
	v_mov_b32_e32 v9, v5
	;; [unrolled: 1-line block ×3, first 2 shown]
                                        ; implicit-def: $vgpr29
                                        ; implicit-def: $vgpr31
	s_and_saveexec_b64 s[6:7], s[0:1]
	s_cbranch_execz .LBB0_11
; %bb.10:
	global_load_dwordx2 v[8:9], v[2:3], off offset:640
	global_load_dwordx2 v[10:11], v[2:3], off offset:1440
	;; [unrolled: 1-line block ×4, first 2 shown]
	s_waitcnt vmcnt(2)
	v_mov_b32_e32 v5, v11
.LBB0_11:
	s_or_b64 exec, exec, s[6:7]
	v_mov_b32_e32 v2, v4
	s_waitcnt vmcnt(2)
	v_mov_b32_e32 v7, v12
	s_waitcnt vmcnt(1)
	v_mov_b32_e32 v33, v18
	v_mov_b32_e32 v11, v5
	;; [unrolled: 1-line block ×8, first 2 shown]
	s_waitcnt vmcnt(0)
	v_mov_b32_e32 v17, v38
	v_mov_b32_e32 v27, v39
.LBB0_12:
	s_or_b64 exec, exec, s[2:3]
	s_mov_b32 s0, 0xaaaaaaab
	v_mul_hi_u32 v3, v6, s0
	v_lshrrev_b32_e32 v3, 1, v3
	v_lshl_add_u32 v3, v3, 1, v3
	v_pk_add_f32 v[38:39], v[10:11], v[28:29] neg_lo:[0,1] neg_hi:[0,1]
	v_sub_u32_e32 v3, v6, v3
	v_add_f32_e32 v36, v23, v23
	v_add_f32_e32 v40, v11, v11
	v_mov_b32_e32 v41, v10
	v_mov_b32_e32 v42, v39
	;; [unrolled: 1-line block ×4, first 2 shown]
	v_sub_f32_e32 v32, v23, v19
	v_pk_add_f32 v[28:29], v[40:41], v[42:43] neg_lo:[0,1] neg_hi:[0,1]
	v_pk_add_f32 v[40:41], v[20:21], v[6:7] neg_lo:[0,1] neg_hi:[0,1]
	;; [unrolled: 1-line block ×3, first 2 shown]
	v_fma_f32 v20, v20, 2.0, -v40
	v_mov_b32_e32 v21, v40
	v_fma_f32 v36, v37, 2.0, -v19
	v_mov_b32_e32 v37, v32
	v_mul_u32_u24_e32 v3, 0x190, v3
	v_lshl_add_u32 v5, v4, 4, 0
	v_pk_add_f32 v[32:33], v[20:21], v[36:37] neg_lo:[0,1] neg_hi:[0,1]
	v_lshl_add_u32 v22, v3, 2, v5
	v_pk_fma_f32 v[20:21], v[20:21], 2.0, v[32:33] op_sel_hi:[1,0,1] neg_lo:[0,0,1] neg_hi:[0,0,1]
	v_mov_b32_e32 v6, v17
	v_add_f32_e32 v34, v15, v15
	ds_write2_b64 v22, v[20:21], v[32:33] offset1:1
	v_pk_add_f32 v[32:33], v[16:17], v[6:7] neg_lo:[0,1] neg_hi:[0,1]
	v_sub_f32_e32 v6, v15, v13
	v_pk_add_f32 v[12:13], v[34:35], v[6:7] neg_lo:[0,1] neg_hi:[0,1]
	v_fma_f32 v14, v16, 2.0, -v32
	v_mov_b32_e32 v15, v32
	v_fma_f32 v16, v35, 2.0, -v13
	v_mov_b32_e32 v17, v6
	v_pk_add_f32 v[6:7], v[14:15], v[16:17] neg_lo:[0,1] neg_hi:[0,1]
	v_pk_add_f32 v[30:31], v[8:9], v[30:31] neg_lo:[0,1] neg_hi:[0,1]
	v_pk_fma_f32 v[14:15], v[14:15], 2.0, v[6:7] op_sel_hi:[1,0,1] neg_lo:[0,0,1] neg_hi:[0,0,1]
	ds_write2_b64 v22, v[14:15], v[6:7] offset0:80 offset1:81
	v_add_u32_e32 v6, 0x50, v4
	v_add_u32_e32 v20, 0x280, v22
	v_cmp_gt_u32_e64 s[0:1], 20, v4
	v_lshlrev_b32_e32 v21, 4, v6
	v_lshlrev_b32_e32 v16, 2, v3
	s_and_saveexec_b64 s[2:3], s[0:1]
	s_cbranch_execz .LBB0_14
; %bb.13:
	v_fma_f32 v38, v10, 2.0, -v29
	v_fma_f32 v6, v8, 2.0, -v30
	v_mov_b32_e32 v7, v30
	v_pk_add_f32 v[10:11], v[6:7], v[38:39] neg_lo:[0,1] neg_hi:[0,1]
	v_add3_u32 v3, 0, v21, v16
	v_pk_fma_f32 v[6:7], v[6:7], 2.0, v[10:11] op_sel_hi:[1,0,1] neg_lo:[0,0,1] neg_hi:[0,0,1]
	ds_write2_b64 v3, v[6:7], v[10:11] offset1:1
.LBB0_14:
	s_or_b64 exec, exec, s[2:3]
	v_mov_b32_e32 v6, v25
	v_pk_add_f32 v[6:7], v[24:25], v[6:7] neg_lo:[0,1] neg_hi:[0,1]
	v_lshlrev_b32_e32 v3, 2, v4
	v_fma_f32 v10, v24, 2.0, -v6
	v_mov_b32_e32 v11, v6
	v_mov_b32_e32 v6, v27
	v_pk_add_f32 v[6:7], v[26:27], v[6:7] neg_lo:[0,1] neg_hi:[0,1]
	v_pk_add_f32 v[24:25], v[10:11], v[18:19] neg_lo:[0,1] neg_hi:[0,1]
	v_fma_f32 v14, v26, 2.0, -v6
	v_mov_b32_e32 v15, v6
	v_mul_i32_i24_e32 v6, -12, v4
	v_pk_add_f32 v[18:19], v[10:11], v[18:19]
	v_pk_add_f32 v[32:33], v[14:15], v[12:13] neg_lo:[0,1] neg_hi:[0,1]
	v_pk_add_f32 v[34:35], v[14:15], v[12:13]
	v_add3_u32 v5, v5, v6, v16
	v_mov_b32_e32 v25, v19
	v_mov_b32_e32 v33, v35
	v_add_u32_e32 v18, 0x400, v5
	v_pk_fma_f32 v[26:27], v[10:11], 2.0, v[24:25] op_sel_hi:[1,0,1] neg_lo:[0,0,1] neg_hi:[0,0,1]
	v_pk_fma_f32 v[36:37], v[14:15], 2.0, v[32:33] op_sel_hi:[1,0,1] neg_lo:[0,0,1] neg_hi:[0,0,1]
	s_waitcnt lgkmcnt(0)
	s_barrier
	v_add3_u32 v3, 0, v16, v3
	ds_read2_b32 v[14:15], v5 offset0:40 offset1:80
	ds_read2_b32 v[12:13], v5 offset0:120 offset1:160
	;; [unrolled: 1-line block ×4, first 2 shown]
	ds_read_b32 v8, v3
	ds_read_b32 v17, v5 offset:1440
	s_waitcnt lgkmcnt(0)
	s_barrier
	ds_write2_b64 v22, v[26:27], v[24:25] offset1:1
	ds_write2_b64 v20, v[36:37], v[32:33] offset1:1
	s_and_saveexec_b64 s[2:3], s[0:1]
	s_cbranch_execz .LBB0_16
; %bb.15:
	v_fma_f32 v22, v9, 2.0, -v31
	v_mov_b32_e32 v23, v31
	v_pk_add_f32 v[24:25], v[22:23], v[28:29] neg_lo:[0,1] neg_hi:[0,1]
	v_pk_add_f32 v[26:27], v[30:31], v[28:29]
	v_add3_u32 v9, 0, v21, v16
	v_mov_b32_e32 v25, v27
	v_pk_fma_f32 v[22:23], v[22:23], 2.0, v[24:25] op_sel_hi:[1,0,1] neg_lo:[0,0,1] neg_hi:[0,0,1]
	ds_write2_b64 v9, v[22:23], v[24:25] offset1:1
.LBB0_16:
	s_or_b64 exec, exec, s[2:3]
	v_and_b32_e32 v9, 3, v4
	v_mul_u32_u24_e32 v19, 9, v9
	v_lshlrev_b32_e32 v19, 3, v19
	s_waitcnt lgkmcnt(0)
	s_barrier
	global_load_dwordx4 v[20:23], v19, s[4:5]
	global_load_dwordx4 v[24:27], v19, s[4:5] offset:16
	global_load_dwordx4 v[28:31], v19, s[4:5] offset:32
	;; [unrolled: 1-line block ×3, first 2 shown]
	global_load_dwordx2 v[36:37], v19, s[4:5] offset:64
	ds_read2_b32 v[38:39], v5 offset0:40 offset1:80
	ds_read2_b32 v[40:41], v5 offset0:120 offset1:160
	;; [unrolled: 1-line block ×4, first 2 shown]
	ds_read_b32 v19, v3
	ds_read_b32 v46, v5 offset:1440
	s_mov_b32 s10, 0xbf737871
	s_mov_b32 s6, 0x3f737871
	;; [unrolled: 1-line block ×4, first 2 shown]
	s_waitcnt lgkmcnt(0)
	s_barrier
	s_mov_b32 s2, 0x3e9e377a
	s_mov_b32 s12, 0x3f4f1bbd
	s_waitcnt vmcnt(4)
	v_mul_f32_e32 v47, v38, v21
	s_waitcnt vmcnt(3)
	v_mul_f32_e32 v50, v41, v27
	;; [unrolled: 2-line block ×3, first 2 shown]
	v_mul_f32_e32 v21, v14, v21
	v_mul_f32_e32 v48, v39, v23
	;; [unrolled: 1-line block ×7, first 2 shown]
	s_waitcnt vmcnt(1)
	v_mul_f32_e32 v54, v45, v35
	v_mul_f32_e32 v35, v7, v35
	v_fma_f32 v13, v13, v26, -v50
	v_fma_f32 v11, v11, v30, -v52
	v_mul_f32_e32 v53, v44, v33
	v_mul_f32_e32 v33, v6, v33
	v_fma_f32 v14, v14, v20, -v47
	v_fma_f32 v15, v15, v22, -v48
	s_waitcnt vmcnt(0)
	v_mul_f32_e32 v47, v46, v37
	v_fmac_f32_e32 v21, v38, v20
	v_fmac_f32_e32 v23, v39, v22
	v_mul_f32_e32 v20, v17, v37
	v_fma_f32 v12, v12, v24, -v49
	v_fmac_f32_e32 v25, v40, v24
	v_fma_f32 v7, v7, v34, -v54
	v_fmac_f32_e32 v35, v45, v34
	v_add_f32_e32 v24, v13, v11
	v_mul_f32_e32 v51, v42, v29
	v_mul_f32_e32 v29, v10, v29
	v_fmac_f32_e32 v27, v41, v26
	v_fmac_f32_e32 v31, v43, v30
	v_fma_f32 v6, v6, v32, -v53
	v_fmac_f32_e32 v33, v44, v32
	v_fma_f32 v17, v17, v36, -v47
	v_fmac_f32_e32 v20, v46, v36
	v_add_f32_e32 v22, v8, v15
	v_sub_f32_e32 v26, v23, v35
	v_sub_f32_e32 v30, v15, v13
	;; [unrolled: 1-line block ×3, first 2 shown]
	v_add_f32_e32 v34, v15, v7
	v_sub_f32_e32 v36, v13, v15
	v_sub_f32_e32 v37, v11, v7
	v_fma_f32 v24, -0.5, v24, v8
	v_fma_f32 v10, v10, v28, -v51
	v_fmac_f32_e32 v29, v42, v28
	v_sub_f32_e32 v28, v27, v31
	v_add_f32_e32 v22, v22, v13
	v_add_f32_e32 v30, v30, v32
	v_fmac_f32_e32 v8, -0.5, v34
	v_add_f32_e32 v32, v36, v37
	v_fmamk_f32 v36, v26, 0x3f737871, v24
	v_fmac_f32_e32 v24, 0xbf737871, v26
	v_add_f32_e32 v22, v22, v11
	v_fmamk_f32 v37, v28, 0xbf737871, v8
	v_fmac_f32_e32 v8, 0x3f737871, v28
	v_fmac_f32_e32 v36, 0x3f167918, v28
	;; [unrolled: 1-line block ×3, first 2 shown]
	v_add_f32_e32 v28, v27, v31
	v_add_f32_e32 v22, v22, v7
	v_fma_f32 v28, -0.5, v28, v19
	v_sub_f32_e32 v7, v15, v7
	v_fmac_f32_e32 v36, 0x3e9e377a, v30
	v_fmac_f32_e32 v24, 0x3e9e377a, v30
	v_fmamk_f32 v15, v7, 0xbf737871, v28
	v_sub_f32_e32 v11, v13, v11
	v_sub_f32_e32 v13, v23, v27
	;; [unrolled: 1-line block ×3, first 2 shown]
	v_fmac_f32_e32 v28, 0x3f737871, v7
	v_fmac_f32_e32 v15, 0xbf167918, v11
	v_add_f32_e32 v13, v13, v30
	v_fmac_f32_e32 v28, 0x3f167918, v11
	v_fmac_f32_e32 v15, 0x3e9e377a, v13
	;; [unrolled: 1-line block ×3, first 2 shown]
	v_add_f32_e32 v13, v23, v35
	v_add_f32_e32 v38, v19, v23
	v_fmac_f32_e32 v19, -0.5, v13
	v_add_f32_e32 v34, v38, v27
	v_fmamk_f32 v13, v11, 0x3f737871, v19
	v_sub_f32_e32 v23, v27, v23
	v_sub_f32_e32 v27, v31, v35
	v_fmac_f32_e32 v19, 0xbf737871, v11
	v_fmac_f32_e32 v13, 0xbf167918, v7
	v_add_f32_e32 v23, v23, v27
	v_fmac_f32_e32 v19, 0x3f167918, v7
	v_add_f32_e32 v11, v10, v6
	v_fmac_f32_e32 v37, 0x3f167918, v26
	v_fmac_f32_e32 v8, 0xbf167918, v26
	;; [unrolled: 1-line block ×4, first 2 shown]
	v_fma_f32 v11, -0.5, v11, v14
	v_sub_f32_e32 v23, v25, v20
	v_add_f32_e32 v34, v34, v31
	v_fmac_f32_e32 v37, 0x3e9e377a, v32
	v_fmac_f32_e32 v8, 0x3e9e377a, v32
	v_fmamk_f32 v27, v23, 0x3f737871, v11
	v_sub_f32_e32 v30, v29, v33
	v_sub_f32_e32 v31, v12, v10
	;; [unrolled: 1-line block ×3, first 2 shown]
	v_fmac_f32_e32 v11, 0xbf737871, v23
	v_fmac_f32_e32 v27, 0x3f167918, v30
	v_add_f32_e32 v31, v31, v32
	v_fmac_f32_e32 v11, 0xbf167918, v30
	v_fmac_f32_e32 v27, 0x3e9e377a, v31
	;; [unrolled: 1-line block ×3, first 2 shown]
	v_add_f32_e32 v31, v12, v17
	v_add_f32_e32 v7, v14, v12
	v_fmac_f32_e32 v14, -0.5, v31
	v_add_f32_e32 v26, v34, v35
	v_add_f32_e32 v7, v7, v10
	v_fmamk_f32 v31, v30, 0xbf737871, v14
	v_sub_f32_e32 v32, v10, v12
	v_sub_f32_e32 v34, v6, v17
	v_fmac_f32_e32 v14, 0x3f737871, v30
	v_add_f32_e32 v30, v29, v33
	v_add_f32_e32 v7, v7, v6
	v_fmac_f32_e32 v31, 0x3f167918, v23
	v_add_f32_e32 v32, v32, v34
	v_fmac_f32_e32 v14, 0xbf167918, v23
	v_fma_f32 v30, -0.5, v30, v21
	v_sub_f32_e32 v12, v12, v17
	v_add_f32_e32 v7, v7, v17
	v_fmac_f32_e32 v31, 0x3e9e377a, v32
	v_fmac_f32_e32 v14, 0x3e9e377a, v32
	v_fmamk_f32 v17, v12, 0xbf737871, v30
	v_sub_f32_e32 v6, v10, v6
	v_sub_f32_e32 v10, v25, v29
	;; [unrolled: 1-line block ×3, first 2 shown]
	v_fmac_f32_e32 v30, 0x3f737871, v12
	v_fmac_f32_e32 v17, 0xbf167918, v6
	v_add_f32_e32 v10, v10, v32
	v_fmac_f32_e32 v30, 0x3f167918, v6
	v_add_f32_e32 v23, v21, v25
	v_fmac_f32_e32 v17, 0x3e9e377a, v10
	v_fmac_f32_e32 v30, 0x3e9e377a, v10
	v_add_f32_e32 v10, v25, v20
	v_add_f32_e32 v23, v23, v29
	v_fmac_f32_e32 v21, -0.5, v10
	v_add_f32_e32 v23, v23, v33
	v_fmamk_f32 v10, v6, 0x3f737871, v21
	v_fmac_f32_e32 v21, 0xbf737871, v6
	v_add_f32_e32 v23, v23, v20
	v_fmac_f32_e32 v10, 0xbf167918, v12
	v_sub_f32_e32 v25, v29, v25
	v_sub_f32_e32 v20, v33, v20
	v_fmac_f32_e32 v21, 0x3f167918, v12
	v_mul_f32_e32 v12, 0x3f167918, v17
	v_add_f32_e32 v20, v25, v20
	v_fmac_f32_e32 v12, 0x3f4f1bbd, v27
	v_mul_f32_e32 v27, 0xbf167918, v27
	v_fmac_f32_e32 v10, 0x3e9e377a, v20
	v_fmac_f32_e32 v21, 0x3e9e377a, v20
	;; [unrolled: 1-line block ×3, first 2 shown]
	v_mul_f32_e32 v17, 0xbf737871, v31
	v_mul_f32_e32 v25, 0x3f737871, v10
	v_fmac_f32_e32 v17, 0x3e9e377a, v10
	v_mul_f32_e32 v10, 0x3e9e377a, v21
	v_mul_f32_e32 v32, 0x3e9e377a, v14
	v_fma_f32 v10, v14, s10, -v10
	v_fma_f32 v32, v21, s6, -v32
	v_add_f32_e32 v21, v19, v10
	v_sub_f32_e32 v19, v19, v10
	v_lshrrev_b32_e32 v10, 2, v4
	v_mul_u32_u24_e32 v10, 40, v10
	v_or_b32_e32 v9, v10, v9
	v_fmac_f32_e32 v25, 0x3e9e377a, v31
	v_mul_f32_e32 v34, 0x3f4f1bbd, v11
	v_mul_f32_e32 v14, 0x3f4f1bbd, v30
	v_lshlrev_b32_e32 v9, 2, v9
	v_add_f32_e32 v6, v22, v7
	v_add_f32_e32 v20, v36, v12
	;; [unrolled: 1-line block ×3, first 2 shown]
	v_fma_f32 v34, v30, s0, -v34
	v_add_f32_e32 v38, v26, v23
	v_fma_f32 v11, v11, s8, -v14
	v_sub_f32_e32 v12, v36, v12
	v_sub_f32_e32 v14, v37, v25
	v_sub_f32_e32 v8, v8, v32
	v_sub_f32_e32 v23, v26, v23
	v_add3_u32 v26, 0, v9, v16
	v_add_f32_e32 v29, v37, v25
	v_add_f32_e32 v35, v24, v34
	v_add_f32_e32 v31, v13, v17
	v_add_f32_e32 v30, v28, v11
	v_sub_f32_e32 v7, v22, v7
	v_sub_f32_e32 v22, v24, v34
	;; [unrolled: 1-line block ×4, first 2 shown]
	ds_write2_b32 v26, v6, v20 offset1:4
	ds_write2_b32 v26, v29, v33 offset0:8 offset1:12
	ds_write2_b32 v26, v35, v7 offset0:16 offset1:20
	;; [unrolled: 1-line block ×4, first 2 shown]
	s_waitcnt lgkmcnt(0)
	s_barrier
	ds_read2_b32 v[8:9], v5 offset0:40 offset1:80
	ds_read2_b32 v[16:17], v5 offset0:120 offset1:160
	;; [unrolled: 1-line block ×4, first 2 shown]
	ds_read_b32 v6, v3
	ds_read_b32 v14, v5 offset:1440
	v_add_f32_e32 v39, v15, v27
	v_sub_f32_e32 v15, v15, v27
	s_waitcnt lgkmcnt(0)
	s_barrier
	ds_write2_b32 v26, v38, v39 offset1:4
	ds_write2_b32 v26, v31, v21 offset0:8 offset1:12
	ds_write2_b32 v26, v30, v23 offset0:16 offset1:20
	;; [unrolled: 1-line block ×4, first 2 shown]
	s_waitcnt lgkmcnt(0)
	s_barrier
	s_and_saveexec_b64 s[14:15], vcc
	s_cbranch_execz .LBB0_18
; %bb.17:
	v_mul_u32_u24_e32 v4, 9, v4
	v_lshlrev_b32_e32 v4, 3, v4
	global_load_dwordx4 v[18:21], v4, s[4:5] offset:304
	global_load_dwordx2 v[34:35], v4, s[4:5] offset:352
	global_load_dwordx4 v[22:25], v4, s[4:5] offset:288
	global_load_dwordx4 v[26:29], v4, s[4:5] offset:320
	;; [unrolled: 1-line block ×3, first 2 shown]
	ds_read2_b32 v[36:37], v5 offset0:40 offset1:80
	ds_read2_b32 v[38:39], v5 offset0:120 offset1:160
	;; [unrolled: 1-line block ×3, first 2 shown]
	ds_read_b32 v7, v3
	ds_read_b32 v4, v5 offset:1440
	v_mov_b32_e32 v3, 0
	v_add_u32_e32 v15, 0x400, v5
	v_lshl_add_u64 v[0:1], v[2:3], 3, v[0:1]
	s_waitcnt lgkmcnt(3)
	v_mov_b32_e32 v2, v39
	v_mov_b32_e32 v42, v17
	;; [unrolled: 1-line block ×8, first 2 shown]
	s_mov_b32 s11, s6
	s_mov_b32 s9, s0
	s_waitcnt vmcnt(4)
	v_mov_b32_e32 v56, v21
	v_mov_b32_e32 v57, v20
	v_pk_mul_f32 v[38:39], v[18:19], v[38:39] op_sel_hi:[1,0]
	v_pk_mul_f32 v[2:3], v[2:3], v[56:57] op_sel_hi:[0,1]
	v_pk_fma_f32 v[56:57], v[16:17], v[18:19], v[38:39] op_sel:[0,0,1] op_sel_hi:[1,1,0] neg_lo:[0,0,1] neg_hi:[0,0,1]
	v_pk_fma_f32 v[16:17], v[16:17], v[18:19], v[38:39] op_sel:[0,0,1] op_sel_hi:[0,1,0]
	ds_read2_b32 v[18:19], v15 offset0:24 offset1:64
	v_pk_fma_f32 v[38:39], v[42:43], v[20:21], v[2:3] neg_lo:[0,0,1] neg_hi:[0,0,1]
	v_pk_fma_f32 v[2:3], v[44:45], v[20:21], v[2:3] op_sel_hi:[0,1,1]
	s_waitcnt vmcnt(3) lgkmcnt(1)
	v_pk_mul_f32 v[4:5], v[34:35], v[4:5] op_sel_hi:[1,0]
	v_mov_b32_e32 v2, v37
	v_pk_fma_f32 v[42:43], v[14:15], v[34:35], v[4:5] op_sel:[0,0,1] op_sel_hi:[1,1,0] neg_lo:[0,0,1] neg_hi:[0,0,1]
	v_pk_fma_f32 v[4:5], v[14:15], v[34:35], v[4:5] op_sel:[0,0,1] op_sel_hi:[0,1,0]
	s_waitcnt vmcnt(2)
	v_mov_b32_e32 v14, v25
	v_mov_b32_e32 v15, v24
	;; [unrolled: 1-line block ×3, first 2 shown]
	s_waitcnt lgkmcnt(0)
	v_mov_b32_e32 v4, v19
	v_pk_mul_f32 v[14:15], v[2:3], v[14:15] op_sel_hi:[0,1]
	s_waitcnt vmcnt(1)
	v_pk_mul_f32 v[40:41], v[26:27], v[40:41] op_sel_hi:[1,0]
	s_waitcnt vmcnt(0)
	v_pk_mul_f32 v[18:19], v[30:31], v[18:19] op_sel_hi:[1,0]
	v_pk_mul_f32 v[36:37], v[22:23], v[36:37] op_sel_hi:[1,0]
	v_mov_b32_e32 v16, v13
	v_mov_b32_e32 v34, v29
	;; [unrolled: 1-line block ×3, first 2 shown]
	v_pk_fma_f32 v[44:45], v[10:11], v[26:27], v[40:41] op_sel:[0,0,1] op_sel_hi:[1,1,0] neg_lo:[0,0,1] neg_hi:[0,0,1]
	v_pk_fma_f32 v[10:11], v[10:11], v[26:27], v[40:41] op_sel:[0,0,1] op_sel_hi:[0,1,0]
	v_pk_fma_f32 v[26:27], v[12:13], v[30:31], v[18:19] op_sel:[0,0,1] op_sel_hi:[1,1,0] neg_lo:[0,0,1] neg_hi:[0,0,1]
	v_pk_fma_f32 v[12:13], v[12:13], v[30:31], v[18:19] op_sel:[0,0,1] op_sel_hi:[0,1,0]
	;; [unrolled: 2-line block ×3, first 2 shown]
	v_pk_fma_f32 v[22:23], v[46:47], v[24:25], v[14:15] neg_lo:[0,0,1] neg_hi:[0,0,1]
	v_pk_fma_f32 v[14:15], v[48:49], v[24:25], v[14:15] op_sel_hi:[0,1,1]
	v_pk_mul_f32 v[20:21], v[20:21], v[34:35] op_sel_hi:[0,1]
	v_mov_b32_e32 v34, v33
	v_mov_b32_e32 v35, v32
	;; [unrolled: 1-line block ×5, first 2 shown]
	v_pk_mul_f32 v[34:35], v[4:5], v[34:35] op_sel_hi:[0,1]
	v_pk_fma_f32 v[24:25], v[50:51], v[28:29], v[20:21] neg_lo:[0,0,1] neg_hi:[0,0,1]
	v_pk_fma_f32 v[20:21], v[52:53], v[28:29], v[20:21] op_sel_hi:[0,1,1]
	v_mov_b32_e32 v45, v11
	v_mov_b32_e32 v39, v3
	v_pk_add_f32 v[2:3], v[56:57], v[18:19]
	v_pk_add_f32 v[8:9], v[6:7], v[22:23]
	v_pk_fma_f32 v[28:29], v[54:55], v[32:33], v[34:35] neg_lo:[0,0,1] neg_hi:[0,0,1]
	v_pk_fma_f32 v[30:31], v[16:17], v[32:33], v[34:35] op_sel_hi:[0,1,1]
	v_mov_b32_e32 v27, v13
	v_mov_b32_e32 v25, v21
	v_pk_add_f32 v[2:3], v[44:45], v[2:3]
	v_pk_add_f32 v[8:9], v[8:9], v[38:39]
	v_mov_b32_e32 v43, v5
	v_mov_b32_e32 v29, v31
	v_pk_add_f32 v[2:3], v[26:27], v[2:3]
	v_pk_add_f32 v[8:9], v[8:9], v[24:25]
	v_pk_add_f32 v[16:17], v[22:23], v[38:39] neg_lo:[0,1] neg_hi:[0,1]
	v_pk_add_f32 v[20:21], v[28:29], v[24:25] neg_lo:[0,1] neg_hi:[0,1]
	v_pk_add_f32 v[2:3], v[42:43], v[2:3]
	v_pk_add_f32 v[8:9], v[28:29], v[8:9]
	v_pk_add_f32 v[4:5], v[56:57], v[42:43] neg_lo:[0,1] neg_hi:[0,1]
	v_pk_add_f32 v[16:17], v[16:17], v[20:21]
	v_pk_add_f32 v[20:21], v[8:9], v[2:3]
	;; [unrolled: 1-line block ×3, first 2 shown]
	global_store_dwordx2 v[0:1], v[20:21], off
	v_pk_mul_f32 v[20:21], v[4:5], s[6:7] op_sel_hi:[1,0]
	v_pk_fma_f32 v[34:35], v[34:35], 0.5, v[18:19] op_sel_hi:[1,0,1] neg_lo:[1,0,0] neg_hi:[1,0,0]
	v_pk_add_f32 v[36:37], v[44:45], v[26:27] neg_lo:[0,1] neg_hi:[0,1]
	v_pk_add_f32 v[46:47], v[56:57], v[44:45] neg_lo:[0,1] neg_hi:[0,1]
	;; [unrolled: 1-line block ×3, first 2 shown]
	v_pk_mul_f32 v[40:41], v[36:37], s[0:1] op_sel_hi:[1,0]
	v_pk_add_f32 v[46:47], v[46:47], v[48:49]
	v_pk_add_f32 v[48:49], v[34:35], v[20:21] op_sel:[0,1] op_sel_hi:[1,0]
	v_pk_add_f32 v[20:21], v[34:35], v[20:21] op_sel:[0,1] op_sel_hi:[1,0] neg_lo:[0,1] neg_hi:[0,1]
	v_pk_add_f32 v[10:11], v[38:39], v[24:25]
	v_pk_add_f32 v[12:13], v[22:23], v[28:29] neg_lo:[0,1] neg_hi:[0,1]
	v_pk_add_f32 v[20:21], v[20:21], v[40:41] op_sel:[0,1] op_sel_hi:[1,0] neg_lo:[0,1] neg_hi:[0,1]
	v_pk_add_f32 v[34:35], v[48:49], v[40:41] op_sel:[0,1] op_sel_hi:[1,0]
	v_pk_add_f32 v[14:15], v[38:39], v[24:25] neg_lo:[0,1] neg_hi:[0,1]
	v_pk_fma_f32 v[10:11], v[10:11], 0.5, v[6:7] op_sel_hi:[1,0,1] neg_lo:[1,0,0] neg_hi:[1,0,0]
	v_pk_mul_f32 v[30:31], v[12:13], s[6:7] op_sel_hi:[1,0]
	v_mov_b32_e32 v40, v34
	v_mov_b32_e32 v41, v21
	v_pk_mul_f32 v[32:33], v[14:15], s[0:1] op_sel_hi:[1,0]
	v_pk_fma_f32 v[40:41], v[46:47], s[2:3], v[40:41] op_sel_hi:[1,0,1]
	v_pk_add_f32 v[48:49], v[10:11], v[30:31] op_sel:[0,1] op_sel_hi:[1,0]
	v_pk_add_f32 v[10:11], v[10:11], v[30:31] op_sel:[0,1] op_sel_hi:[1,0] neg_lo:[0,1] neg_hi:[0,1]
	v_pk_add_f32 v[30:31], v[48:49], v[32:33] op_sel:[0,1] op_sel_hi:[1,0]
	v_pk_add_f32 v[10:11], v[10:11], v[32:33] op_sel:[0,1] op_sel_hi:[1,0] neg_lo:[0,1] neg_hi:[0,1]
	v_pk_mul_f32 v[48:49], v[40:41], s[0:1] op_sel_hi:[1,0]
	v_mov_b32_e32 v32, v30
	v_mov_b32_e32 v33, v11
	v_pk_fma_f32 v[50:51], v[40:41], s[12:13], v[48:49] op_sel:[0,0,1] op_sel_hi:[1,0,0]
	v_pk_fma_f32 v[40:41], v[40:41], s[12:13], v[48:49] op_sel:[0,0,1] op_sel_hi:[1,0,0] neg_lo:[0,0,1] neg_hi:[0,0,1]
	v_pk_fma_f32 v[32:33], v[16:17], s[2:3], v[32:33] op_sel_hi:[1,0,1]
	v_mov_b32_e32 v51, v41
	v_pk_add_f32 v[40:41], v[32:33], v[50:51]
	global_store_dwordx2 v[0:1], v[40:41], off offset:320
	v_pk_add_f32 v[40:41], v[44:45], v[56:57] neg_lo:[0,1] neg_hi:[0,1]
	v_pk_add_f32 v[26:27], v[26:27], v[42:43] neg_lo:[0,1] neg_hi:[0,1]
	;; [unrolled: 1-line block ×3, first 2 shown]
	v_pk_add_f32 v[26:27], v[40:41], v[26:27]
	v_pk_add_f32 v[40:41], v[56:57], v[42:43]
	;; [unrolled: 1-line block ×3, first 2 shown]
	v_pk_fma_f32 v[18:19], v[40:41], 0.5, v[18:19] op_sel_hi:[1,0,1] neg_lo:[1,0,0] neg_hi:[1,0,0]
	v_pk_fma_f32 v[6:7], v[22:23], 0.5, v[6:7] op_sel_hi:[1,0,1] neg_lo:[1,0,0] neg_hi:[1,0,0]
	v_pk_mul_f32 v[22:23], v[36:37], s[6:7] op_sel_hi:[1,0]
	v_pk_add_f32 v[24:25], v[24:25], v[28:29] neg_lo:[0,1] neg_hi:[0,1]
	v_pk_mul_f32 v[4:5], v[4:5], s[0:1] op_sel_hi:[1,0]
	v_pk_add_f32 v[28:29], v[18:19], v[22:23] op_sel:[0,1] op_sel_hi:[1,0] neg_lo:[0,1] neg_hi:[0,1]
	v_pk_add_f32 v[18:19], v[18:19], v[22:23] op_sel:[0,1] op_sel_hi:[1,0]
	v_pk_mul_f32 v[14:15], v[14:15], s[6:7] op_sel_hi:[1,0]
	v_pk_add_f32 v[18:19], v[18:19], v[4:5] op_sel:[0,1] op_sel_hi:[1,0] neg_lo:[0,1] neg_hi:[0,1]
	v_pk_add_f32 v[4:5], v[28:29], v[4:5] op_sel:[0,1] op_sel_hi:[1,0]
	v_pk_mul_f32 v[12:13], v[12:13], s[0:1] op_sel_hi:[1,0]
	v_mov_b32_e32 v23, v19
	v_pk_add_f32 v[28:29], v[6:7], v[14:15] op_sel:[0,1] op_sel_hi:[1,0] neg_lo:[0,1] neg_hi:[0,1]
	v_pk_add_f32 v[6:7], v[6:7], v[14:15] op_sel:[0,1] op_sel_hi:[1,0]
	v_mov_b32_e32 v19, v5
	v_mov_b32_e32 v22, v4
	v_pk_add_f32 v[6:7], v[6:7], v[12:13] op_sel:[0,1] op_sel_hi:[1,0] neg_lo:[0,1] neg_hi:[0,1]
	v_pk_add_f32 v[12:13], v[28:29], v[12:13] op_sel:[0,1] op_sel_hi:[1,0]
	v_pk_fma_f32 v[4:5], v[26:27], s[2:3], v[18:19] op_sel_hi:[1,0,1]
	v_pk_add_f32 v[24:25], v[38:39], v[24:25]
	v_pk_fma_f32 v[22:23], v[26:27], s[2:3], v[22:23] op_sel_hi:[1,0,1]
	v_mov_b32_e32 v14, v12
	v_mov_b32_e32 v15, v7
	;; [unrolled: 1-line block ×3, first 2 shown]
	v_pk_mul_f32 v[12:13], v[4:5], s[2:3] op_sel_hi:[1,0]
	v_pk_mul_f32 v[28:29], v[22:23], s[6:7] op_sel_hi:[1,0]
	v_pk_fma_f32 v[6:7], v[24:25], s[2:3], v[6:7] op_sel_hi:[1,0,1]
	v_pk_fma_f32 v[4:5], v[4:5], s[10:11], v[12:13] op_sel:[0,0,1] op_sel_hi:[1,1,0] neg_lo:[0,0,1] neg_hi:[0,0,1]
	v_pk_fma_f32 v[36:37], v[22:23], s[2:3], v[28:29] op_sel:[0,0,1] op_sel_hi:[1,0,0]
	v_pk_fma_f32 v[22:23], v[22:23], s[2:3], v[28:29] op_sel:[0,0,1] op_sel_hi:[1,0,0] neg_lo:[0,0,1] neg_hi:[0,0,1]
	v_pk_add_f32 v[12:13], v[6:7], v[4:5] op_sel:[0,1] op_sel_hi:[1,0]
	v_mov_b32_e32 v21, v35
	v_pk_add_f32 v[2:3], v[8:9], v[2:3] neg_lo:[0,1] neg_hi:[0,1]
	v_pk_fma_f32 v[14:15], v[24:25], s[2:3], v[14:15] op_sel_hi:[1,0,1]
	v_mov_b32_e32 v37, v23
	global_store_dwordx2 v[0:1], v[12:13], off offset:960
	v_pk_fma_f32 v[12:13], v[46:47], s[2:3], v[20:21] op_sel_hi:[1,0,1]
	v_mov_b32_e32 v11, v31
	global_store_dwordx2 v[0:1], v[2:3], off offset:1600
	v_pk_add_f32 v[2:3], v[32:33], v[50:51] neg_lo:[0,1] neg_hi:[0,1]
	v_pk_fma_f32 v[10:11], v[16:17], s[2:3], v[10:11] op_sel_hi:[1,0,1]
	v_pk_mul_f32 v[16:17], v[12:13], s[12:13] op_sel_hi:[1,0]
	global_store_dwordx2 v[0:1], v[2:3], off offset:1920
	v_pk_add_f32 v[2:3], v[14:15], v[36:37] neg_lo:[0,1] neg_hi:[0,1]
	v_pk_fma_f32 v[12:13], v[12:13], s[8:9], v[16:17] op_sel:[0,0,1] op_sel_hi:[1,1,0] neg_lo:[0,0,1] neg_hi:[0,0,1]
	global_store_dwordx2 v[0:1], v[2:3], off offset:2240
	v_pk_add_f32 v[2:3], v[6:7], v[4:5] op_sel:[0,1] op_sel_hi:[1,0] neg_lo:[0,1] neg_hi:[0,1]
	v_pk_add_f32 v[22:23], v[14:15], v[36:37]
	v_pk_add_f32 v[16:17], v[10:11], v[12:13] op_sel:[0,1] op_sel_hi:[1,0]
	global_store_dwordx2 v[0:1], v[2:3], off offset:2560
	v_pk_add_f32 v[2:3], v[10:11], v[12:13] op_sel:[0,1] op_sel_hi:[1,0] neg_lo:[0,1] neg_hi:[0,1]
	global_store_dwordx2 v[0:1], v[22:23], off offset:640
	global_store_dwordx2 v[0:1], v[16:17], off offset:1280
	;; [unrolled: 1-line block ×3, first 2 shown]
.LBB0_18:
	s_endpgm
	.section	.rodata,"a",@progbits
	.p2align	6, 0x0
	.amdhsa_kernel fft_rtc_fwd_len400_factors_4_10_10_wgs_120_tpt_40_halfLds_sp_ip_CI_unitstride_sbrr_dirReg
		.amdhsa_group_segment_fixed_size 0
		.amdhsa_private_segment_fixed_size 0
		.amdhsa_kernarg_size 88
		.amdhsa_user_sgpr_count 2
		.amdhsa_user_sgpr_dispatch_ptr 0
		.amdhsa_user_sgpr_queue_ptr 0
		.amdhsa_user_sgpr_kernarg_segment_ptr 1
		.amdhsa_user_sgpr_dispatch_id 0
		.amdhsa_user_sgpr_kernarg_preload_length 0
		.amdhsa_user_sgpr_kernarg_preload_offset 0
		.amdhsa_user_sgpr_private_segment_size 0
		.amdhsa_uses_dynamic_stack 0
		.amdhsa_enable_private_segment 0
		.amdhsa_system_sgpr_workgroup_id_x 1
		.amdhsa_system_sgpr_workgroup_id_y 0
		.amdhsa_system_sgpr_workgroup_id_z 0
		.amdhsa_system_sgpr_workgroup_info 0
		.amdhsa_system_vgpr_workitem_id 0
		.amdhsa_next_free_vgpr 58
		.amdhsa_next_free_sgpr 22
		.amdhsa_accum_offset 60
		.amdhsa_reserve_vcc 1
		.amdhsa_float_round_mode_32 0
		.amdhsa_float_round_mode_16_64 0
		.amdhsa_float_denorm_mode_32 3
		.amdhsa_float_denorm_mode_16_64 3
		.amdhsa_dx10_clamp 1
		.amdhsa_ieee_mode 1
		.amdhsa_fp16_overflow 0
		.amdhsa_tg_split 0
		.amdhsa_exception_fp_ieee_invalid_op 0
		.amdhsa_exception_fp_denorm_src 0
		.amdhsa_exception_fp_ieee_div_zero 0
		.amdhsa_exception_fp_ieee_overflow 0
		.amdhsa_exception_fp_ieee_underflow 0
		.amdhsa_exception_fp_ieee_inexact 0
		.amdhsa_exception_int_div_zero 0
	.end_amdhsa_kernel
	.text
.Lfunc_end0:
	.size	fft_rtc_fwd_len400_factors_4_10_10_wgs_120_tpt_40_halfLds_sp_ip_CI_unitstride_sbrr_dirReg, .Lfunc_end0-fft_rtc_fwd_len400_factors_4_10_10_wgs_120_tpt_40_halfLds_sp_ip_CI_unitstride_sbrr_dirReg
                                        ; -- End function
	.section	.AMDGPU.csdata,"",@progbits
; Kernel info:
; codeLenInByte = 4768
; NumSgprs: 28
; NumVgprs: 58
; NumAgprs: 0
; TotalNumVgprs: 58
; ScratchSize: 0
; MemoryBound: 0
; FloatMode: 240
; IeeeMode: 1
; LDSByteSize: 0 bytes/workgroup (compile time only)
; SGPRBlocks: 3
; VGPRBlocks: 7
; NumSGPRsForWavesPerEU: 28
; NumVGPRsForWavesPerEU: 58
; AccumOffset: 60
; Occupancy: 8
; WaveLimiterHint : 1
; COMPUTE_PGM_RSRC2:SCRATCH_EN: 0
; COMPUTE_PGM_RSRC2:USER_SGPR: 2
; COMPUTE_PGM_RSRC2:TRAP_HANDLER: 0
; COMPUTE_PGM_RSRC2:TGID_X_EN: 1
; COMPUTE_PGM_RSRC2:TGID_Y_EN: 0
; COMPUTE_PGM_RSRC2:TGID_Z_EN: 0
; COMPUTE_PGM_RSRC2:TIDIG_COMP_CNT: 0
; COMPUTE_PGM_RSRC3_GFX90A:ACCUM_OFFSET: 14
; COMPUTE_PGM_RSRC3_GFX90A:TG_SPLIT: 0
	.text
	.p2alignl 6, 3212836864
	.fill 256, 4, 3212836864
	.type	__hip_cuid_945a6ccdbf644b3b,@object ; @__hip_cuid_945a6ccdbf644b3b
	.section	.bss,"aw",@nobits
	.globl	__hip_cuid_945a6ccdbf644b3b
__hip_cuid_945a6ccdbf644b3b:
	.byte	0                               ; 0x0
	.size	__hip_cuid_945a6ccdbf644b3b, 1

	.ident	"AMD clang version 19.0.0git (https://github.com/RadeonOpenCompute/llvm-project roc-6.4.0 25133 c7fe45cf4b819c5991fe208aaa96edf142730f1d)"
	.section	".note.GNU-stack","",@progbits
	.addrsig
	.addrsig_sym __hip_cuid_945a6ccdbf644b3b
	.amdgpu_metadata
---
amdhsa.kernels:
  - .agpr_count:     0
    .args:
      - .actual_access:  read_only
        .address_space:  global
        .offset:         0
        .size:           8
        .value_kind:     global_buffer
      - .offset:         8
        .size:           8
        .value_kind:     by_value
      - .actual_access:  read_only
        .address_space:  global
        .offset:         16
        .size:           8
        .value_kind:     global_buffer
      - .actual_access:  read_only
        .address_space:  global
        .offset:         24
        .size:           8
        .value_kind:     global_buffer
      - .offset:         32
        .size:           8
        .value_kind:     by_value
      - .actual_access:  read_only
        .address_space:  global
        .offset:         40
        .size:           8
        .value_kind:     global_buffer
      - .actual_access:  read_only
        .address_space:  global
        .offset:         48
        .size:           8
        .value_kind:     global_buffer
      - .offset:         56
        .size:           4
        .value_kind:     by_value
      - .actual_access:  read_only
        .address_space:  global
        .offset:         64
        .size:           8
        .value_kind:     global_buffer
      - .actual_access:  read_only
        .address_space:  global
        .offset:         72
        .size:           8
        .value_kind:     global_buffer
      - .address_space:  global
        .offset:         80
        .size:           8
        .value_kind:     global_buffer
    .group_segment_fixed_size: 0
    .kernarg_segment_align: 8
    .kernarg_segment_size: 88
    .language:       OpenCL C
    .language_version:
      - 2
      - 0
    .max_flat_workgroup_size: 120
    .name:           fft_rtc_fwd_len400_factors_4_10_10_wgs_120_tpt_40_halfLds_sp_ip_CI_unitstride_sbrr_dirReg
    .private_segment_fixed_size: 0
    .sgpr_count:     28
    .sgpr_spill_count: 0
    .symbol:         fft_rtc_fwd_len400_factors_4_10_10_wgs_120_tpt_40_halfLds_sp_ip_CI_unitstride_sbrr_dirReg.kd
    .uniform_work_group_size: 1
    .uses_dynamic_stack: false
    .vgpr_count:     58
    .vgpr_spill_count: 0
    .wavefront_size: 64
amdhsa.target:   amdgcn-amd-amdhsa--gfx950
amdhsa.version:
  - 1
  - 2
...

	.end_amdgpu_metadata
